;; amdgpu-corpus repo=ROCm/rocFFT kind=compiled arch=gfx906 opt=O3
	.text
	.amdgcn_target "amdgcn-amd-amdhsa--gfx906"
	.amdhsa_code_object_version 6
	.protected	fft_rtc_fwd_len294_factors_6_7_7_wgs_126_tpt_42_half_op_CI_CI_unitstride_sbrr_R2C_dirReg ; -- Begin function fft_rtc_fwd_len294_factors_6_7_7_wgs_126_tpt_42_half_op_CI_CI_unitstride_sbrr_R2C_dirReg
	.globl	fft_rtc_fwd_len294_factors_6_7_7_wgs_126_tpt_42_half_op_CI_CI_unitstride_sbrr_R2C_dirReg
	.p2align	8
	.type	fft_rtc_fwd_len294_factors_6_7_7_wgs_126_tpt_42_half_op_CI_CI_unitstride_sbrr_R2C_dirReg,@function
fft_rtc_fwd_len294_factors_6_7_7_wgs_126_tpt_42_half_op_CI_CI_unitstride_sbrr_R2C_dirReg: ; @fft_rtc_fwd_len294_factors_6_7_7_wgs_126_tpt_42_half_op_CI_CI_unitstride_sbrr_R2C_dirReg
; %bb.0:
	v_mul_u32_u24_e32 v1, 0x619, v0
	s_load_dwordx4 s[8:11], s[4:5], 0x58
	s_load_dwordx4 s[12:15], s[4:5], 0x0
	;; [unrolled: 1-line block ×3, first 2 shown]
	v_lshrrev_b32_e32 v1, 16, v1
	v_mad_u64_u32 v[5:6], s[0:1], s6, 3, v[1:2]
	v_mov_b32_e32 v10, 0
	s_waitcnt lgkmcnt(0)
	v_cmp_lt_u64_e64 s[0:1], s[14:15], 2
	v_mov_b32_e32 v8, 0
	v_mov_b32_e32 v6, v10
	;; [unrolled: 1-line block ×5, first 2 shown]
	s_and_b64 vcc, exec, s[0:1]
	v_mov_b32_e32 v2, v9
	v_mov_b32_e32 v4, v6
	s_cbranch_vccnz .LBB0_8
; %bb.1:
	s_load_dwordx2 s[0:1], s[4:5], 0x10
	s_add_u32 s2, s18, 8
	s_addc_u32 s3, s19, 0
	s_add_u32 s6, s16, 8
	s_addc_u32 s7, s17, 0
	v_mov_b32_e32 v8, 0
	s_waitcnt lgkmcnt(0)
	s_add_u32 s20, s0, 8
	v_mov_b32_e32 v9, 0
	v_mov_b32_e32 v1, v8
	;; [unrolled: 1-line block ×3, first 2 shown]
	s_addc_u32 s21, s1, 0
	s_mov_b64 s[22:23], 1
	v_mov_b32_e32 v2, v9
	v_mov_b32_e32 v6, v5
.LBB0_2:                                ; =>This Inner Loop Header: Depth=1
	s_load_dwordx2 s[24:25], s[20:21], 0x0
                                        ; implicit-def: $vgpr3_vgpr4
	s_waitcnt lgkmcnt(0)
	v_or_b32_e32 v11, s25, v7
	v_cmp_ne_u64_e32 vcc, 0, v[10:11]
	s_and_saveexec_b64 s[0:1], vcc
	s_xor_b64 s[26:27], exec, s[0:1]
	s_cbranch_execz .LBB0_4
; %bb.3:                                ;   in Loop: Header=BB0_2 Depth=1
	v_cvt_f32_u32_e32 v3, s24
	v_cvt_f32_u32_e32 v4, s25
	s_sub_u32 s0, 0, s24
	s_subb_u32 s1, 0, s25
	v_mac_f32_e32 v3, 0x4f800000, v4
	v_rcp_f32_e32 v3, v3
	v_mul_f32_e32 v3, 0x5f7ffffc, v3
	v_mul_f32_e32 v4, 0x2f800000, v3
	v_trunc_f32_e32 v4, v4
	v_mac_f32_e32 v3, 0xcf800000, v4
	v_cvt_u32_f32_e32 v4, v4
	v_cvt_u32_f32_e32 v3, v3
	v_mul_lo_u32 v11, s0, v4
	v_mul_hi_u32 v12, s0, v3
	v_mul_lo_u32 v14, s1, v3
	v_mul_lo_u32 v13, s0, v3
	v_add_u32_e32 v11, v12, v11
	v_add_u32_e32 v11, v11, v14
	v_mul_hi_u32 v12, v3, v13
	v_mul_lo_u32 v14, v3, v11
	v_mul_hi_u32 v16, v3, v11
	v_mul_hi_u32 v15, v4, v13
	v_mul_lo_u32 v13, v4, v13
	v_mul_hi_u32 v17, v4, v11
	v_add_co_u32_e32 v12, vcc, v12, v14
	v_addc_co_u32_e32 v14, vcc, 0, v16, vcc
	v_mul_lo_u32 v11, v4, v11
	v_add_co_u32_e32 v12, vcc, v12, v13
	v_addc_co_u32_e32 v12, vcc, v14, v15, vcc
	v_addc_co_u32_e32 v13, vcc, 0, v17, vcc
	v_add_co_u32_e32 v11, vcc, v12, v11
	v_addc_co_u32_e32 v12, vcc, 0, v13, vcc
	v_add_co_u32_e32 v3, vcc, v3, v11
	v_addc_co_u32_e32 v4, vcc, v4, v12, vcc
	v_mul_lo_u32 v11, s0, v4
	v_mul_hi_u32 v12, s0, v3
	v_mul_lo_u32 v13, s1, v3
	v_mul_lo_u32 v14, s0, v3
	v_add_u32_e32 v11, v12, v11
	v_add_u32_e32 v11, v11, v13
	v_mul_lo_u32 v15, v3, v11
	v_mul_hi_u32 v16, v3, v14
	v_mul_hi_u32 v17, v3, v11
	;; [unrolled: 1-line block ×3, first 2 shown]
	v_mul_lo_u32 v14, v4, v14
	v_mul_hi_u32 v12, v4, v11
	v_add_co_u32_e32 v15, vcc, v16, v15
	v_addc_co_u32_e32 v16, vcc, 0, v17, vcc
	v_mul_lo_u32 v11, v4, v11
	v_add_co_u32_e32 v14, vcc, v15, v14
	v_addc_co_u32_e32 v13, vcc, v16, v13, vcc
	v_addc_co_u32_e32 v12, vcc, 0, v12, vcc
	v_add_co_u32_e32 v11, vcc, v13, v11
	v_addc_co_u32_e32 v12, vcc, 0, v12, vcc
	v_add_co_u32_e32 v11, vcc, v3, v11
	v_addc_co_u32_e32 v12, vcc, v4, v12, vcc
	v_mad_u64_u32 v[3:4], s[0:1], v6, v12, 0
	v_mul_hi_u32 v13, v6, v11
	v_add_co_u32_e32 v13, vcc, v13, v3
	v_addc_co_u32_e32 v14, vcc, 0, v4, vcc
	v_mad_u64_u32 v[3:4], s[0:1], v7, v11, 0
	v_mad_u64_u32 v[11:12], s[0:1], v7, v12, 0
	v_add_co_u32_e32 v3, vcc, v13, v3
	v_addc_co_u32_e32 v3, vcc, v14, v4, vcc
	v_addc_co_u32_e32 v4, vcc, 0, v12, vcc
	v_add_co_u32_e32 v11, vcc, v3, v11
	v_addc_co_u32_e32 v12, vcc, 0, v4, vcc
	v_mul_lo_u32 v13, s25, v11
	v_mul_lo_u32 v14, s24, v12
	v_mad_u64_u32 v[3:4], s[0:1], s24, v11, 0
	v_add3_u32 v4, v4, v14, v13
	v_sub_u32_e32 v13, v7, v4
	v_mov_b32_e32 v14, s25
	v_sub_co_u32_e32 v3, vcc, v6, v3
	v_subb_co_u32_e64 v13, s[0:1], v13, v14, vcc
	v_subrev_co_u32_e64 v14, s[0:1], s24, v3
	v_subbrev_co_u32_e64 v13, s[0:1], 0, v13, s[0:1]
	v_cmp_le_u32_e64 s[0:1], s25, v13
	v_cndmask_b32_e64 v15, 0, -1, s[0:1]
	v_cmp_le_u32_e64 s[0:1], s24, v14
	v_cndmask_b32_e64 v14, 0, -1, s[0:1]
	v_cmp_eq_u32_e64 s[0:1], s25, v13
	v_cndmask_b32_e64 v13, v15, v14, s[0:1]
	v_add_co_u32_e64 v14, s[0:1], 2, v11
	v_addc_co_u32_e64 v15, s[0:1], 0, v12, s[0:1]
	v_add_co_u32_e64 v16, s[0:1], 1, v11
	v_addc_co_u32_e64 v17, s[0:1], 0, v12, s[0:1]
	v_subb_co_u32_e32 v4, vcc, v7, v4, vcc
	v_cmp_ne_u32_e64 s[0:1], 0, v13
	v_cmp_le_u32_e32 vcc, s25, v4
	v_cndmask_b32_e64 v13, v17, v15, s[0:1]
	v_cndmask_b32_e64 v15, 0, -1, vcc
	v_cmp_le_u32_e32 vcc, s24, v3
	v_cndmask_b32_e64 v3, 0, -1, vcc
	v_cmp_eq_u32_e32 vcc, s25, v4
	v_cndmask_b32_e32 v3, v15, v3, vcc
	v_cmp_ne_u32_e32 vcc, 0, v3
	v_cndmask_b32_e64 v3, v16, v14, s[0:1]
	v_cndmask_b32_e32 v4, v12, v13, vcc
	v_cndmask_b32_e32 v3, v11, v3, vcc
.LBB0_4:                                ;   in Loop: Header=BB0_2 Depth=1
	s_andn2_saveexec_b64 s[0:1], s[26:27]
	s_cbranch_execz .LBB0_6
; %bb.5:                                ;   in Loop: Header=BB0_2 Depth=1
	v_cvt_f32_u32_e32 v3, s24
	s_sub_i32 s26, 0, s24
	v_rcp_iflag_f32_e32 v3, v3
	v_mul_f32_e32 v3, 0x4f7ffffe, v3
	v_cvt_u32_f32_e32 v3, v3
	v_mul_lo_u32 v4, s26, v3
	v_mul_hi_u32 v4, v3, v4
	v_add_u32_e32 v3, v3, v4
	v_mul_hi_u32 v3, v6, v3
	v_mul_lo_u32 v4, v3, s24
	v_add_u32_e32 v11, 1, v3
	v_sub_u32_e32 v4, v6, v4
	v_subrev_u32_e32 v12, s24, v4
	v_cmp_le_u32_e32 vcc, s24, v4
	v_cndmask_b32_e32 v4, v4, v12, vcc
	v_cndmask_b32_e32 v3, v3, v11, vcc
	v_add_u32_e32 v11, 1, v3
	v_cmp_le_u32_e32 vcc, s24, v4
	v_cndmask_b32_e32 v3, v3, v11, vcc
	v_mov_b32_e32 v4, v10
.LBB0_6:                                ;   in Loop: Header=BB0_2 Depth=1
	s_or_b64 exec, exec, s[0:1]
	v_mul_lo_u32 v13, v4, s24
	v_mul_lo_u32 v14, v3, s25
	v_mad_u64_u32 v[11:12], s[0:1], v3, s24, 0
	s_load_dwordx2 s[0:1], s[6:7], 0x0
	s_load_dwordx2 s[24:25], s[2:3], 0x0
	v_add3_u32 v12, v12, v14, v13
	v_sub_co_u32_e32 v6, vcc, v6, v11
	v_subb_co_u32_e32 v7, vcc, v7, v12, vcc
	s_waitcnt lgkmcnt(0)
	v_mul_lo_u32 v11, s0, v7
	v_mul_lo_u32 v12, s1, v6
	v_mad_u64_u32 v[8:9], s[0:1], s0, v6, v[8:9]
	v_mul_lo_u32 v7, s24, v7
	v_mul_lo_u32 v13, s25, v6
	v_mad_u64_u32 v[1:2], s[0:1], s24, v6, v[1:2]
	s_add_u32 s22, s22, 1
	s_addc_u32 s23, s23, 0
	s_add_u32 s2, s2, 8
	v_add3_u32 v2, v13, v2, v7
	s_addc_u32 s3, s3, 0
	v_mov_b32_e32 v6, s14
	s_add_u32 s6, s6, 8
	v_mov_b32_e32 v7, s15
	s_addc_u32 s7, s7, 0
	v_cmp_ge_u64_e32 vcc, s[22:23], v[6:7]
	s_add_u32 s20, s20, 8
	v_add3_u32 v9, v12, v9, v11
	s_addc_u32 s21, s21, 0
	s_cbranch_vccnz .LBB0_8
; %bb.7:                                ;   in Loop: Header=BB0_2 Depth=1
	v_mov_b32_e32 v7, v4
	v_mov_b32_e32 v6, v3
	s_branch .LBB0_2
.LBB0_8:
	s_mov_b32 s2, 0xaaaaaaab
	s_load_dwordx2 s[0:1], s[4:5], 0x28
	v_mul_hi_u32 v6, v5, s2
	s_lshl_b64 s[6:7], s[14:15], 3
	s_add_u32 s2, s18, s6
	s_addc_u32 s3, s19, s7
	v_lshrrev_b32_e32 v6, 1, v6
	v_lshl_add_u32 v6, v6, 1, v6
	s_waitcnt lgkmcnt(0)
	v_cmp_gt_u64_e32 vcc, s[0:1], v[3:4]
	v_cmp_le_u64_e64 s[0:1], s[0:1], v[3:4]
	v_sub_u32_e32 v6, v5, v6
                                        ; implicit-def: $vgpr5
                                        ; implicit-def: $vgpr7
	s_and_saveexec_b64 s[4:5], s[0:1]
	s_xor_b64 s[0:1], exec, s[4:5]
; %bb.9:
	s_mov_b32 s4, 0x6186187
	v_mul_hi_u32 v5, v0, s4
                                        ; implicit-def: $vgpr8_vgpr9
	v_mul_u32_u24_e32 v5, 42, v5
	v_sub_u32_e32 v5, v0, v5
	v_add_u32_e32 v7, 42, v5
                                        ; implicit-def: $vgpr0
; %bb.10:
	s_or_saveexec_b64 s[4:5], s[0:1]
	v_mul_u32_u24_e32 v6, 0x127, v6
	v_lshlrev_b32_e32 v20, 2, v6
	s_xor_b64 exec, exec, s[4:5]
	s_cbranch_execz .LBB0_12
; %bb.11:
	s_add_u32 s0, s16, s6
	s_addc_u32 s1, s17, s7
	s_load_dwordx2 s[0:1], s[0:1], 0x0
	s_mov_b32 s6, 0x6186187
	v_mul_hi_u32 v5, v0, s6
	s_waitcnt lgkmcnt(0)
	v_mul_lo_u32 v10, s1, v3
	v_mul_lo_u32 v11, s0, v4
	v_mad_u64_u32 v[6:7], s[0:1], s0, v3, 0
	v_mul_u32_u24_e32 v5, 42, v5
	v_sub_u32_e32 v5, v0, v5
	v_add3_u32 v7, v7, v11, v10
	v_lshlrev_b64 v[6:7], 2, v[6:7]
	v_mov_b32_e32 v0, s9
	v_add_co_u32_e64 v10, s[0:1], s8, v6
	v_addc_co_u32_e64 v0, s[0:1], v0, v7, s[0:1]
	v_lshlrev_b64 v[6:7], 2, v[8:9]
	v_lshlrev_b32_e32 v8, 2, v5
	v_add_co_u32_e64 v6, s[0:1], v10, v6
	v_addc_co_u32_e64 v0, s[0:1], v0, v7, s[0:1]
	v_add_co_u32_e64 v6, s[0:1], v6, v8
	v_addc_co_u32_e64 v7, s[0:1], 0, v0, s[0:1]
	global_load_dword v0, v[6:7], off
	global_load_dword v9, v[6:7], off offset:168
	global_load_dword v10, v[6:7], off offset:336
	global_load_dword v11, v[6:7], off offset:504
	global_load_dword v12, v[6:7], off offset:672
	global_load_dword v13, v[6:7], off offset:840
	global_load_dword v14, v[6:7], off offset:1008
	v_add_u32_e32 v7, 42, v5
	v_add3_u32 v6, 0, v20, v8
	s_waitcnt vmcnt(5)
	ds_write2_b32 v6, v0, v9 offset1:42
	s_waitcnt vmcnt(3)
	ds_write2_b32 v6, v10, v11 offset0:84 offset1:126
	s_waitcnt vmcnt(1)
	ds_write2_b32 v6, v12, v13 offset0:168 offset1:210
	s_waitcnt vmcnt(0)
	ds_write_b32 v6, v14 offset:1008
.LBB0_12:
	s_or_b64 exec, exec, s[4:5]
	v_lshlrev_b32_e32 v6, 2, v5
	v_add_u32_e32 v0, 0, v20
	v_add3_u32 v19, 0, v6, v20
	s_load_dwordx2 s[2:3], s[2:3], 0x0
	s_waitcnt lgkmcnt(0)
	s_barrier
	v_add_u32_e32 v18, v0, v6
	ds_read2_b32 v[8:9], v19 offset0:42 offset1:49
	ds_read2_b32 v[10:11], v19 offset0:91 offset1:98
	ds_read_b32 v21, v19 offset:1148
	ds_read_b32 v22, v18
	ds_read2_b32 v[16:17], v19 offset0:189 offset1:196
	ds_read2_b32 v[12:13], v19 offset0:140 offset1:147
	;; [unrolled: 1-line block ×3, first 2 shown]
	s_movk_i32 s6, 0x3aee
	s_waitcnt lgkmcnt(3)
	v_pk_add_f16 v24, v22, v11
	s_waitcnt lgkmcnt(2)
	v_pk_add_f16 v25, v11, v17
	v_pk_add_f16 v11, v11, v17 neg_lo:[0,1] neg_hi:[0,1]
	v_pk_fma_f16 v22, v25, 0.5, v22 op_sel_hi:[1,0,1] neg_lo:[1,0,0] neg_hi:[1,0,0]
	v_pk_mul_f16 v11, v11, s6 op_sel_hi:[1,0]
	v_pk_add_f16 v24, v24, v17
	v_pk_add_f16 v17, v22, v11 op_sel:[0,1] op_sel_hi:[1,0]
	v_pk_add_f16 v11, v22, v11 op_sel:[0,1] op_sel_hi:[1,0] neg_lo:[0,1] neg_hi:[0,1]
	s_waitcnt lgkmcnt(0)
	v_pk_add_f16 v22, v13, v15
	v_pk_fma_f16 v22, v22, 0.5, v9 op_sel_hi:[1,0,1] neg_lo:[1,0,0] neg_hi:[1,0,0]
	v_pk_add_f16 v25, v13, v15 neg_lo:[0,1] neg_hi:[0,1]
	v_pk_fma_f16 v26, v25, s6, v22 op_sel:[0,0,1] op_sel_hi:[1,0,0]
	v_pk_fma_f16 v22, v25, s6, v22 op_sel:[0,0,1] op_sel_hi:[1,0,0] neg_lo:[1,0,0] neg_hi:[1,0,0]
	v_lshrrev_b32_e32 v27, 16, v26
	v_mul_f16_e32 v25, 0x3aee, v22
	v_pk_add_f16 v9, v9, v13
	s_mov_b32 s7, 0xffff
	v_fma_f16 v25, v27, 0.5, v25
	v_mul_f16_e32 v27, 0xbaee, v27
	v_pk_add_f16 v13, v9, v15
	v_bfi_b32 v15, s7, v26, v22
	v_fma_f16 v27, v22, 0.5, v27
	s_mov_b32 s8, 0xbaee3aee
	v_pk_mul_f16 v22, v15, 0.5 op_sel_hi:[1,0]
	v_pk_fma_f16 v15, v15, s8, v22 op_sel:[0,0,1] op_sel_hi:[1,1,0] neg_lo:[0,0,1] neg_hi:[0,0,1]
	v_bfi_b32 v22, s7, v11, v17
	v_mad_u32_u24 v23, v5, 20, v19
	v_pk_add_f16 v9, v24, v13
	v_pk_add_f16 v22, v22, v15
	v_pk_add_f16 v13, v24, v13 neg_lo:[0,1] neg_hi:[0,1]
	v_add_f16_e32 v28, v17, v25
	v_add_f16_sdwa v29, v11, v27 dst_sel:DWORD dst_unused:UNUSED_PAD src0_sel:WORD_1 src1_sel:DWORD
	s_barrier
	ds_write2_b32 v23, v22, v13 offset0:2 offset1:3
	v_pack_b32_f16 v13, v27, v15
	v_pack_b32_f16 v28, v28, v29
	v_sub_f16_e32 v25, v17, v25
	v_sub_f16_sdwa v17, v17, v15 dst_sel:DWORD dst_unused:UNUSED_PAD src0_sel:WORD_1 src1_sel:WORD_1
	v_pk_add_f16 v11, v11, v13 op_sel:[1,0] op_sel_hi:[0,1] neg_lo:[0,1] neg_hi:[0,1]
	ds_write2_b32 v23, v9, v28 offset1:1
	v_mul_u32_u24_e32 v9, 6, v5
	v_alignbit_b32 v13, v17, v11, 16
	v_pack_b32_f16 v11, v25, v11
	v_cmp_gt_u32_e64 s[0:1], 7, v5
	ds_write2_b32 v23, v11, v13 offset0:4 offset1:5
	s_and_saveexec_b64 s[4:5], s[0:1]
	s_cbranch_execz .LBB0_14
; %bb.13:
	v_pk_add_f16 v13, v10, v16
	v_pk_add_f16 v22, v16, v21 neg_lo:[0,1] neg_hi:[0,1]
	v_pk_add_f16 v16, v16, v21
	v_pk_fma_f16 v10, v16, 0.5, v10 op_sel_hi:[1,0,1] neg_lo:[1,0,0] neg_hi:[1,0,0]
	v_pk_fma_f16 v16, v22, s6, v10 op_sel:[0,0,1] op_sel_hi:[1,0,0]
	v_pk_fma_f16 v10, v22, s6, v10 op_sel:[0,0,1] op_sel_hi:[1,0,0] neg_lo:[1,0,0] neg_hi:[1,0,0]
	v_pk_add_f16 v13, v13, v21
	v_bfi_b32 v21, s7, v16, v10
	v_lshrrev_b32_e32 v16, 16, v16
	v_pk_add_f16 v11, v8, v12
	v_pk_add_f16 v22, v12, v14
	v_pk_add_f16 v12, v12, v14 neg_lo:[0,1] neg_hi:[0,1]
	v_mul_f16_e32 v23, 0xbaee, v16
	v_pk_fma_f16 v8, v22, 0.5, v8 op_sel_hi:[1,0,1] neg_lo:[1,0,0] neg_hi:[1,0,0]
	v_pk_mul_f16 v12, v12, s6 op_sel_hi:[1,0]
	v_pk_mul_f16 v22, v21, 0.5 op_sel_hi:[1,0]
	v_fma_f16 v23, v10, 0.5, v23
	v_mul_f16_e32 v10, 0x3aee, v10
	v_mul_i32_i24_e32 v15, 6, v7
	v_pk_add_f16 v11, v11, v14
	v_pk_add_f16 v14, v8, v12 op_sel:[0,1] op_sel_hi:[1,0] neg_lo:[0,1] neg_hi:[0,1]
	v_pk_add_f16 v8, v8, v12 op_sel:[0,1] op_sel_hi:[1,0]
	v_pk_fma_f16 v21, v21, s8, v22 op_sel:[0,0,1] op_sel_hi:[1,1,0] neg_lo:[0,0,1] neg_hi:[0,0,1]
	v_fma_f16 v10, v16, 0.5, v10
	v_lshlrev_b32_e32 v15, 2, v15
	v_bfi_b32 v12, s7, v14, v8
	v_sub_f16_sdwa v22, v8, v21 dst_sel:DWORD dst_unused:UNUSED_PAD src0_sel:WORD_1 src1_sel:WORD_1
	v_sub_f16_e32 v16, v8, v10
	v_add_f16_sdwa v24, v14, v23 dst_sel:DWORD dst_unused:UNUSED_PAD src0_sel:WORD_1 src1_sel:DWORD
	v_add_f16_e32 v8, v8, v10
	v_add3_u32 v15, 0, v15, v20
	v_pk_add_f16 v17, v11, v13
	v_pack_b32_f16 v8, v8, v24
	v_pk_add_f16 v12, v12, v21
	ds_write2_b32 v15, v17, v8 offset1:1
	v_pk_add_f16 v8, v11, v13 neg_lo:[0,1] neg_hi:[0,1]
	ds_write2_b32 v15, v12, v8 offset0:2 offset1:3
	v_pack_b32_f16 v8, v23, v21
	v_pk_add_f16 v8, v14, v8 op_sel:[1,0] op_sel_hi:[0,1] neg_lo:[0,1] neg_hi:[0,1]
	v_alignbit_b32 v10, v22, v8, 16
	v_pack_b32_f16 v8, v16, v8
	ds_write2_b32 v15, v8, v10 offset0:4 offset1:5
.LBB0_14:
	s_or_b64 exec, exec, s[4:5]
	s_movk_i32 s0, 0xab
	v_mul_lo_u16_sdwa v8, v5, s0 dst_sel:DWORD dst_unused:UNUSED_PAD src0_sel:BYTE_0 src1_sel:DWORD
	v_lshrrev_b16_e32 v8, 10, v8
	v_mul_lo_u16_e32 v10, 6, v8
	v_sub_u16_e32 v23, v5, v10
	v_mov_b32_e32 v10, 6
	v_mul_u32_u24_sdwa v10, v23, v10 dst_sel:DWORD dst_unused:UNUSED_PAD src0_sel:BYTE_0 src1_sel:DWORD
	v_lshlrev_b32_e32 v16, 2, v10
	s_waitcnt lgkmcnt(0)
	s_barrier
	global_load_dwordx4 v[10:13], v16, s[12:13]
	global_load_dwordx2 v[14:15], v16, s[12:13] offset:16
	v_lshlrev_b32_e32 v24, 2, v7
	ds_read2_b32 v[16:17], v19 offset0:84 offset1:126
	ds_read2_b32 v[21:22], v19 offset0:168 offset1:210
	v_add3_u32 v24, 0, v24, v20
	ds_read_b32 v25, v24
	ds_read_b32 v26, v19 offset:1008
	ds_read_b32 v27, v18
	s_movk_i32 s0, 0x2b26
	s_waitcnt lgkmcnt(4)
	v_lshrrev_b32_e32 v28, 16, v16
	v_lshrrev_b32_e32 v29, 16, v17
	s_waitcnt lgkmcnt(3)
	v_lshrrev_b32_e32 v30, 16, v21
	v_lshrrev_b32_e32 v31, 16, v22
	s_waitcnt lgkmcnt(2)
	v_lshrrev_b32_e32 v32, 16, v25
	s_waitcnt lgkmcnt(1)
	v_lshrrev_b32_e32 v33, 16, v26
	s_movk_i32 s1, 0x39e0
	s_mov_b32 s4, 0xb9e0
	s_movk_i32 s7, 0x3b00
	s_movk_i32 s8, 0x3574
	s_mov_b32 s6, 0xb574
	s_mov_b32 s9, 0xbcab
	s_movk_i32 s5, 0x370e
	s_movk_i32 s14, 0xa8
	v_mad_u32_u24 v8, v8, s14, 0
	s_waitcnt vmcnt(0) lgkmcnt(0)
	s_barrier
	v_mul_f16_sdwa v34, v11, v28 dst_sel:DWORD dst_unused:UNUSED_PAD src0_sel:WORD_1 src1_sel:DWORD
	v_mul_f16_sdwa v35, v11, v16 dst_sel:DWORD dst_unused:UNUSED_PAD src0_sel:WORD_1 src1_sel:DWORD
	;; [unrolled: 1-line block ×12, first 2 shown]
	v_fma_f16 v16, v11, v16, -v34
	v_fma_f16 v17, v12, v17, -v36
	;; [unrolled: 1-line block ×3, first 2 shown]
	v_fma_f16 v10, v10, v32, v39
	v_fma_f16 v11, v11, v28, v35
	;; [unrolled: 1-line block ×4, first 2 shown]
	v_fma_f16 v13, v13, v21, -v41
	v_fma_f16 v21, v14, v22, -v42
	v_fma_f16 v14, v14, v31, v43
	v_fma_f16 v22, v15, v26, -v44
	v_fma_f16 v15, v15, v33, v45
	v_add_f16_e32 v26, v25, v22
	v_add_f16_e32 v29, v10, v15
	v_sub_f16_e32 v22, v25, v22
	v_sub_f16_e32 v10, v10, v15
	v_add_f16_e32 v15, v16, v21
	v_add_f16_e32 v25, v11, v14
	v_sub_f16_e32 v16, v16, v21
	v_sub_f16_e32 v11, v11, v14
	v_add_f16_e32 v14, v17, v13
	v_add_f16_e32 v21, v12, v28
	v_sub_f16_e32 v13, v13, v17
	v_sub_f16_e32 v12, v28, v12
	v_add_f16_e32 v17, v15, v26
	v_add_f16_e32 v28, v25, v29
	v_sub_f16_e32 v30, v15, v26
	v_sub_f16_e32 v26, v26, v14
	v_sub_f16_e32 v15, v14, v15
	v_sub_f16_e32 v31, v25, v29
	;; [unrolled: 1-line block ×4, first 2 shown]
	v_add_f16_e32 v32, v13, v16
	v_sub_f16_e32 v33, v13, v16
	v_sub_f16_e32 v13, v22, v13
	;; [unrolled: 1-line block ×3, first 2 shown]
	v_add_f16_e32 v14, v14, v17
	v_add_f16_e32 v17, v21, v28
	;; [unrolled: 1-line block ×3, first 2 shown]
	v_mul_f16_e32 v22, 0x3a52, v26
	v_mul_f16_e32 v26, 0x2b26, v15
	;; [unrolled: 1-line block ×4, first 2 shown]
	v_add_f16_e32 v34, v12, v11
	v_sub_f16_e32 v35, v12, v11
	v_sub_f16_e32 v11, v11, v10
	v_fma_f16 v15, v15, s0, v22
	v_fma_f16 v26, v30, s1, -v26
	v_fma_f16 v22, v30, s4, -v22
	v_fma_f16 v25, v25, s0, v28
	v_fma_f16 v29, v31, s1, -v29
	v_fma_f16 v28, v31, s4, -v28
	v_mul_f16_e32 v30, 0xb846, v33
	v_mul_f16_e32 v31, 0x3b00, v16
	v_sub_f16_e32 v12, v10, v12
	v_fma_f16 v16, v16, s7, -v30
	v_fma_f16 v30, v13, s8, v30
	v_fma_f16 v13, v13, s6, -v31
	v_mul_f16_e32 v31, 0xb846, v35
	v_mul_f16_e32 v32, 0x3b00, v11
	v_fma_f16 v11, v11, s7, -v31
	v_fma_f16 v31, v12, s8, v31
	v_fma_f16 v12, v12, s6, -v32
	v_add_f16_e32 v32, v14, v27
	v_fma_f16 v14, v14, s9, v32
	v_add_f16_e32 v15, v15, v14
	v_add_f16_e32 v26, v26, v14
	;; [unrolled: 1-line block ×3, first 2 shown]
	v_add_f16_sdwa v22, v17, v27 dst_sel:DWORD dst_unused:UNUSED_PAD src0_sel:DWORD src1_sel:WORD_1
	v_add_f16_e32 v10, v34, v10
	v_fma_f16 v17, v17, s9, v22
	v_add_f16_e32 v25, v25, v17
	v_add_f16_e32 v27, v29, v17
	v_add_f16_e32 v17, v28, v17
	v_fma_f16 v28, v21, s5, v30
	v_fma_f16 v16, v21, s5, v16
	;; [unrolled: 1-line block ×6, first 2 shown]
	v_sub_f16_e32 v12, v26, v11
	v_add_f16_e32 v11, v11, v26
	v_add_f16_e32 v26, v16, v27
	v_sub_f16_e32 v16, v27, v16
	v_add_f16_e32 v27, v10, v14
	v_sub_f16_e32 v10, v14, v10
	v_sub_f16_e32 v14, v17, v13
	v_add_f16_e32 v13, v13, v17
	v_add_f16_e32 v17, v21, v15
	v_sub_f16_e32 v15, v15, v21
	v_sub_f16_e32 v21, v25, v28
	v_add_f16_e32 v25, v28, v25
	v_mov_b32_e32 v28, 2
	v_lshlrev_b32_sdwa v23, v28, v23 dst_sel:DWORD dst_unused:UNUSED_PAD src0_sel:DWORD src1_sel:BYTE_0
	v_add3_u32 v8, v8, v23, v20
	v_pack_b32_f16 v14, v27, v14
	v_pack_b32_f16 v12, v12, v26
	;; [unrolled: 1-line block ×6, first 2 shown]
	ds_write2_b32 v8, v14, v12 offset0:12 offset1:18
	ds_write2_b32 v8, v11, v10 offset0:24 offset1:30
	v_pack_b32_f16 v10, v15, v25
	v_lshlrev_b32_e32 v14, 2, v9
	ds_write2_b32 v8, v20, v17 offset1:6
	ds_write_b32 v8, v10 offset:144
	s_waitcnt lgkmcnt(0)
	s_barrier
	global_load_dwordx4 v[8:11], v14, s[12:13] offset:144
	global_load_dwordx2 v[12:13], v14, s[12:13] offset:160
	ds_read_b32 v20, v24
	ds_read2_b32 v[14:15], v19 offset0:84 offset1:126
	ds_read_b32 v21, v18
	ds_read2_b32 v[16:17], v19 offset0:168 offset1:210
	ds_read_b32 v22, v19 offset:1008
	s_waitcnt lgkmcnt(4)
	v_lshrrev_b32_e32 v23, 16, v20
	s_waitcnt lgkmcnt(3)
	v_lshrrev_b32_e32 v25, 16, v15
	v_lshrrev_b32_e32 v24, 16, v14
	s_waitcnt vmcnt(0) lgkmcnt(0)
	s_barrier
	v_mul_f16_sdwa v26, v8, v23 dst_sel:DWORD dst_unused:UNUSED_PAD src0_sel:WORD_1 src1_sel:DWORD
	v_mul_f16_sdwa v27, v8, v20 dst_sel:DWORD dst_unused:UNUSED_PAD src0_sel:WORD_1 src1_sel:DWORD
	v_fma_f16 v20, v8, v20, -v26
	v_fma_f16 v8, v8, v23, v27
	v_mul_f16_sdwa v23, v10, v25 dst_sel:DWORD dst_unused:UNUSED_PAD src0_sel:WORD_1 src1_sel:DWORD
	v_fma_f16 v23, v10, v15, -v23
	v_mul_f16_sdwa v15, v10, v15 dst_sel:DWORD dst_unused:UNUSED_PAD src0_sel:WORD_1 src1_sel:DWORD
	v_mul_f16_sdwa v28, v9, v24 dst_sel:DWORD dst_unused:UNUSED_PAD src0_sel:WORD_1 src1_sel:DWORD
	;; [unrolled: 1-line block ×3, first 2 shown]
	v_fma_f16 v10, v10, v25, v15
	v_lshrrev_b32_e32 v15, 16, v16
	v_fma_f16 v14, v9, v14, -v28
	v_fma_f16 v9, v9, v24, v29
	v_mul_f16_sdwa v24, v11, v15 dst_sel:DWORD dst_unused:UNUSED_PAD src0_sel:WORD_1 src1_sel:DWORD
	v_fma_f16 v24, v11, v16, -v24
	v_mul_f16_sdwa v16, v11, v16 dst_sel:DWORD dst_unused:UNUSED_PAD src0_sel:WORD_1 src1_sel:DWORD
	v_fma_f16 v11, v11, v15, v16
	v_lshrrev_b32_e32 v15, 16, v17
	v_mul_f16_sdwa v16, v12, v15 dst_sel:DWORD dst_unused:UNUSED_PAD src0_sel:WORD_1 src1_sel:DWORD
	v_fma_f16 v16, v12, v17, -v16
	v_mul_f16_sdwa v17, v12, v17 dst_sel:DWORD dst_unused:UNUSED_PAD src0_sel:WORD_1 src1_sel:DWORD
	v_fma_f16 v12, v12, v15, v17
	v_lshrrev_b32_e32 v15, 16, v22
	v_mul_f16_sdwa v17, v13, v15 dst_sel:DWORD dst_unused:UNUSED_PAD src0_sel:WORD_1 src1_sel:DWORD
	v_fma_f16 v17, v13, v22, -v17
	v_mul_f16_sdwa v22, v13, v22 dst_sel:DWORD dst_unused:UNUSED_PAD src0_sel:WORD_1 src1_sel:DWORD
	v_fma_f16 v13, v13, v15, v22
	v_add_f16_e32 v15, v20, v17
	v_add_f16_e32 v22, v8, v13
	v_sub_f16_e32 v17, v20, v17
	v_sub_f16_e32 v8, v8, v13
	v_add_f16_e32 v13, v14, v16
	v_add_f16_e32 v20, v9, v12
	v_sub_f16_e32 v14, v14, v16
	v_sub_f16_e32 v9, v9, v12
	;; [unrolled: 4-line block ×4, first 2 shown]
	v_sub_f16_e32 v15, v15, v12
	v_sub_f16_e32 v22, v22, v16
	;; [unrolled: 1-line block ×4, first 2 shown]
	v_add_f16_e32 v27, v23, v14
	v_add_f16_e32 v28, v10, v9
	v_sub_f16_e32 v29, v23, v14
	v_add_f16_e32 v11, v12, v11
	v_sub_f16_e32 v12, v10, v9
	v_sub_f16_e32 v23, v17, v23
	;; [unrolled: 1-line block ×5, first 2 shown]
	v_add_f16_e32 v16, v16, v24
	v_add_f16_e32 v17, v27, v17
	;; [unrolled: 1-line block ×3, first 2 shown]
	v_mul_f16_e32 v15, 0x3a52, v15
	v_mul_f16_e32 v22, 0x3a52, v22
	;; [unrolled: 1-line block ×4, first 2 shown]
	v_add_f16_e32 v24, v11, v21
	v_add_f16_sdwa v21, v16, v21 dst_sel:DWORD dst_unused:UNUSED_PAD src0_sel:DWORD src1_sel:WORD_1
	v_mul_f16_e32 v29, 0xb846, v29
	v_mul_f16_e32 v12, 0xb846, v12
	v_fma_f16 v13, v13, s0, v15
	v_fma_f16 v27, v25, s1, -v27
	v_fma_f16 v15, v25, s4, -v15
	v_mul_f16_e32 v25, 0x3b00, v14
	v_fma_f16 v20, v20, s0, v22
	v_fma_f16 v28, v26, s1, -v28
	v_fma_f16 v22, v26, s4, -v22
	v_mul_f16_e32 v26, 0x3b00, v9
	v_fma_f16 v11, v11, s9, v24
	v_fma_f16 v16, v16, s9, v21
	v_fma_f16 v14, v14, s7, -v29
	v_fma_f16 v29, v23, s8, v29
	v_fma_f16 v9, v9, s7, -v12
	;; [unrolled: 2-line block ×3, first 2 shown]
	v_fma_f16 v10, v10, s6, -v26
	v_add_f16_e32 v13, v13, v11
	v_add_f16_e32 v20, v20, v16
	;; [unrolled: 1-line block ×6, first 2 shown]
	v_fma_f16 v16, v17, s5, v29
	v_fma_f16 v12, v8, s5, v12
	;; [unrolled: 1-line block ×6, first 2 shown]
	v_add_f16_e32 v10, v12, v13
	v_sub_f16_e32 v22, v20, v16
	v_add_f16_e32 v23, v8, v11
	v_sub_f16_e32 v28, v25, v9
	v_add_f16_e32 v29, v14, v26
	v_add_f16_e32 v9, v9, v25
	v_sub_f16_e32 v14, v26, v14
	v_sub_f16_e32 v8, v11, v8
	v_add_f16_e32 v11, v17, v15
	v_sub_f16_e32 v27, v15, v17
	v_sub_f16_e32 v12, v13, v12
	v_add_f16_e32 v13, v16, v20
	v_pack_b32_f16 v15, v24, v21
	v_pack_b32_f16 v10, v10, v22
	;; [unrolled: 1-line block ×4, first 2 shown]
	ds_write2_b32 v19, v15, v10 offset1:42
	v_pack_b32_f16 v10, v23, v27
	v_pack_b32_f16 v15, v28, v29
	ds_write2_b32 v19, v9, v8 offset0:168 offset1:210
	v_pack_b32_f16 v8, v12, v13
	ds_write2_b32 v19, v10, v15 offset0:84 offset1:126
	ds_write_b32 v19, v8 offset:1008
	s_waitcnt lgkmcnt(0)
	s_barrier
	ds_read_b32 v8, v18
	v_sub_u32_e32 v11, v0, v6
	v_cmp_ne_u32_e64 s[0:1], 0, v5
                                        ; implicit-def: $vgpr13
                                        ; implicit-def: $vgpr12
                                        ; implicit-def: $vgpr9_vgpr10
	s_and_saveexec_b64 s[4:5], s[0:1]
	s_xor_b64 s[4:5], exec, s[4:5]
	s_cbranch_execz .LBB0_16
; %bb.15:
	v_mov_b32_e32 v6, 0
	v_lshlrev_b64 v[9:10], 2, v[5:6]
	v_mov_b32_e32 v12, s13
	v_add_co_u32_e64 v9, s[0:1], s12, v9
	v_addc_co_u32_e64 v10, s[0:1], v12, v10, s[0:1]
	global_load_dword v9, v[9:10], off offset:1152
	ds_read_b32 v10, v11 offset:1176
	s_waitcnt lgkmcnt(0)
	v_add_f16_sdwa v13, v10, v8 dst_sel:DWORD dst_unused:UNUSED_PAD src0_sel:WORD_1 src1_sel:WORD_1
	v_sub_f16_e32 v14, v8, v10
	v_add_f16_e32 v12, v10, v8
	v_sub_f16_sdwa v8, v8, v10 dst_sel:DWORD dst_unused:UNUSED_PAD src0_sel:WORD_1 src1_sel:WORD_1
	v_mul_f16_e32 v10, 0.5, v13
	v_mul_f16_e32 v13, 0.5, v14
	v_mul_f16_e32 v8, 0.5, v8
	s_waitcnt vmcnt(0)
	v_lshrrev_b32_e32 v14, 16, v9
	v_mul_f16_e32 v15, v14, v13
	v_fma_f16 v16, v10, v14, v8
	v_fma_f16 v8, v10, v14, -v8
	v_fma_f16 v14, v12, 0.5, v15
	v_fma_f16 v15, v12, 0.5, -v15
	v_fma_f16 v16, -v9, v13, v16
	v_fma_f16 v8, -v9, v13, v8
	v_fma_f16 v12, v9, v10, v14
	v_fma_f16 v13, -v9, v10, v15
	v_mov_b32_e32 v10, v6
	ds_write_b16 v18, v16 offset:2
	ds_write_b16 v11, v8 offset:1178
	v_mov_b32_e32 v9, v5
                                        ; implicit-def: $vgpr8
.LBB0_16:
	s_andn2_saveexec_b64 s[0:1], s[4:5]
	s_cbranch_execz .LBB0_18
; %bb.17:
	v_mov_b32_e32 v6, 0
	ds_write_b16 v18, v6 offset:2
	ds_write_b16 v11, v6 offset:1178
	ds_read_u16 v6, v0 offset:590
	v_mov_b32_e32 v9, 0
	s_waitcnt lgkmcnt(3)
	v_add_f16_sdwa v12, v8, v8 dst_sel:DWORD dst_unused:UNUSED_PAD src0_sel:WORD_1 src1_sel:DWORD
	v_sub_f16_sdwa v13, v8, v8 dst_sel:DWORD dst_unused:UNUSED_PAD src0_sel:DWORD src1_sel:WORD_1
	v_mov_b32_e32 v10, 0
	s_waitcnt lgkmcnt(0)
	v_xor_b32_e32 v6, 0x8000, v6
	ds_write_b16 v0, v6 offset:590
.LBB0_18:
	s_or_b64 exec, exec, s[0:1]
	s_waitcnt lgkmcnt(0)
	v_mov_b32_e32 v8, 0
	v_lshlrev_b64 v[14:15], 2, v[7:8]
	v_mov_b32_e32 v6, s13
	v_add_co_u32_e64 v14, s[0:1], s12, v14
	v_addc_co_u32_e64 v15, s[0:1], v6, v15, s[0:1]
	global_load_dword v6, v[14:15], off offset:1152
	s_add_u32 s0, s12, 0x480
	v_lshlrev_b64 v[8:9], 2, v[9:10]
	s_addc_u32 s1, s13, 0
	v_mov_b32_e32 v10, s1
	v_add_co_u32_e64 v8, s[0:1], s0, v8
	v_addc_co_u32_e64 v9, s[0:1], v10, v9, s[0:1]
	global_load_dword v10, v[8:9], off offset:336
	ds_write_b16 v18, v12
	ds_write_b16 v11, v13 offset:1176
	v_lshl_add_u32 v7, v7, 2, v0
	ds_read_b32 v12, v7
	ds_read_b32 v13, v11 offset:1008
	s_mov_b32 s6, 0xffff
	v_cmp_gt_u32_e64 s[0:1], 21, v5
	s_waitcnt lgkmcnt(0)
	v_pk_add_f16 v14, v12, v13 neg_lo:[0,1] neg_hi:[0,1]
	v_pk_add_f16 v12, v12, v13
	v_bfi_b32 v13, s6, v14, v12
	v_bfi_b32 v12, s6, v12, v14
	v_pk_mul_f16 v13, v13, 0.5 op_sel_hi:[1,0]
	v_pk_mul_f16 v12, v12, 0.5 op_sel_hi:[1,0]
	s_waitcnt vmcnt(1)
	v_pk_fma_f16 v14, v6, v13, v12 op_sel:[1,0,0]
	v_pk_mul_f16 v15, v6, v13 op_sel_hi:[0,1]
	v_pk_fma_f16 v16, v6, v13, v12 op_sel:[1,0,0] neg_lo:[1,0,0] neg_hi:[1,0,0]
	v_pk_fma_f16 v6, v6, v13, v12 op_sel:[1,0,0] neg_lo:[0,0,1] neg_hi:[0,0,1]
	v_pk_add_f16 v12, v14, v15 op_sel:[0,1] op_sel_hi:[1,0]
	v_pk_add_f16 v13, v14, v15 op_sel:[0,1] op_sel_hi:[1,0] neg_lo:[0,1] neg_hi:[0,1]
	v_pk_add_f16 v14, v16, v15 op_sel:[0,1] op_sel_hi:[1,0] neg_lo:[0,1] neg_hi:[0,1]
	;; [unrolled: 1-line block ×3, first 2 shown]
	v_bfi_b32 v12, s6, v12, v13
	v_bfi_b32 v6, s6, v14, v6
	ds_write_b32 v7, v12
	ds_write_b32 v11, v6 offset:1008
	ds_read_b32 v6, v18 offset:336
	ds_read_b32 v7, v11 offset:840
	s_waitcnt lgkmcnt(0)
	v_pk_add_f16 v12, v6, v7 neg_lo:[0,1] neg_hi:[0,1]
	v_pk_add_f16 v6, v6, v7
	v_bfi_b32 v7, s6, v12, v6
	v_bfi_b32 v6, s6, v6, v12
	v_pk_mul_f16 v7, v7, 0.5 op_sel_hi:[1,0]
	v_pk_mul_f16 v6, v6, 0.5 op_sel_hi:[1,0]
	s_waitcnt vmcnt(0)
	v_pk_fma_f16 v12, v10, v7, v6 op_sel:[1,0,0]
	v_pk_mul_f16 v13, v10, v7 op_sel_hi:[0,1]
	v_pk_fma_f16 v14, v10, v7, v6 op_sel:[1,0,0] neg_lo:[1,0,0] neg_hi:[1,0,0]
	v_pk_fma_f16 v6, v10, v7, v6 op_sel:[1,0,0] neg_lo:[0,0,1] neg_hi:[0,0,1]
	v_pk_add_f16 v7, v12, v13 op_sel:[0,1] op_sel_hi:[1,0]
	v_pk_add_f16 v10, v12, v13 op_sel:[0,1] op_sel_hi:[1,0] neg_lo:[0,1] neg_hi:[0,1]
	v_pk_add_f16 v12, v14, v13 op_sel:[0,1] op_sel_hi:[1,0] neg_lo:[0,1] neg_hi:[0,1]
	;; [unrolled: 1-line block ×3, first 2 shown]
	v_bfi_b32 v7, s6, v7, v10
	v_bfi_b32 v6, s6, v12, v6
	ds_write_b32 v18, v7 offset:336
	ds_write_b32 v11, v6 offset:840
	s_and_saveexec_b64 s[4:5], s[0:1]
	s_cbranch_execz .LBB0_20
; %bb.19:
	global_load_dword v6, v[8:9], off offset:504
	ds_read_b32 v7, v18 offset:504
	ds_read_b32 v8, v11 offset:672
	s_waitcnt lgkmcnt(0)
	v_pk_add_f16 v9, v7, v8 neg_lo:[0,1] neg_hi:[0,1]
	v_pk_add_f16 v7, v7, v8
	v_bfi_b32 v8, s6, v9, v7
	v_bfi_b32 v7, s6, v7, v9
	v_pk_mul_f16 v8, v8, 0.5 op_sel_hi:[1,0]
	v_pk_mul_f16 v7, v7, 0.5 op_sel_hi:[1,0]
	s_waitcnt vmcnt(0)
	v_pk_fma_f16 v9, v6, v8, v7 op_sel:[1,0,0]
	v_pk_mul_f16 v10, v6, v8 op_sel_hi:[0,1]
	v_pk_fma_f16 v12, v6, v8, v7 op_sel:[1,0,0] neg_lo:[1,0,0] neg_hi:[1,0,0]
	v_pk_fma_f16 v6, v6, v8, v7 op_sel:[1,0,0] neg_lo:[0,0,1] neg_hi:[0,0,1]
	v_pk_add_f16 v7, v9, v10 op_sel:[0,1] op_sel_hi:[1,0]
	v_pk_add_f16 v8, v9, v10 op_sel:[0,1] op_sel_hi:[1,0] neg_lo:[0,1] neg_hi:[0,1]
	v_pk_add_f16 v9, v12, v10 op_sel:[0,1] op_sel_hi:[1,0] neg_lo:[0,1] neg_hi:[0,1]
	;; [unrolled: 1-line block ×3, first 2 shown]
	v_bfi_b32 v7, s6, v7, v8
	v_bfi_b32 v6, s6, v9, v6
	ds_write_b32 v18, v7 offset:504
	ds_write_b32 v11, v6 offset:672
.LBB0_20:
	s_or_b64 exec, exec, s[4:5]
	s_waitcnt lgkmcnt(0)
	s_barrier
	s_and_saveexec_b64 s[0:1], vcc
	s_cbranch_execz .LBB0_23
; %bb.21:
	v_mul_lo_u32 v6, s3, v3
	v_mul_lo_u32 v4, s2, v4
	v_mad_u64_u32 v[7:8], s[0:1], s2, v3, 0
	v_lshl_add_u32 v3, v5, 2, v0
	v_mov_b32_e32 v0, s11
	v_add3_u32 v8, v8, v4, v6
	v_lshlrev_b64 v[7:8], 2, v[7:8]
	v_mov_b32_e32 v6, 0
	v_add_co_u32_e32 v4, vcc, s10, v7
	v_addc_co_u32_e32 v7, vcc, v0, v8, vcc
	v_lshlrev_b64 v[0:1], 2, v[1:2]
	ds_read2_b32 v[9:10], v3 offset1:42
	v_add_co_u32_e32 v0, vcc, v4, v0
	v_addc_co_u32_e32 v1, vcc, v7, v1, vcc
	v_lshlrev_b64 v[7:8], 2, v[5:6]
	ds_read_b32 v2, v3 offset:1008
	v_add_co_u32_e32 v7, vcc, v0, v7
	v_addc_co_u32_e32 v8, vcc, v1, v8, vcc
	s_waitcnt lgkmcnt(1)
	global_store_dword v[7:8], v9, off
	v_add_u32_e32 v7, 42, v5
	v_mov_b32_e32 v8, v6
	v_lshlrev_b64 v[7:8], 2, v[7:8]
	v_add_co_u32_e32 v7, vcc, v0, v7
	v_addc_co_u32_e32 v8, vcc, v1, v8, vcc
	global_store_dword v[7:8], v10, off
	v_add_u32_e32 v7, 0x54, v5
	v_mov_b32_e32 v8, v6
	ds_read2_b32 v[9:10], v3 offset0:84 offset1:126
	v_lshlrev_b64 v[7:8], 2, v[7:8]
	v_add_co_u32_e32 v7, vcc, v0, v7
	v_addc_co_u32_e32 v8, vcc, v1, v8, vcc
	s_waitcnt lgkmcnt(0)
	global_store_dword v[7:8], v9, off
	v_add_u32_e32 v7, 0x7e, v5
	v_mov_b32_e32 v8, v6
	v_lshlrev_b64 v[7:8], 2, v[7:8]
	v_add_co_u32_e32 v7, vcc, v0, v7
	v_addc_co_u32_e32 v8, vcc, v1, v8, vcc
	global_store_dword v[7:8], v10, off
	v_add_u32_e32 v7, 0xa8, v5
	v_mov_b32_e32 v8, v6
	ds_read2_b32 v[9:10], v3 offset0:168 offset1:210
	v_lshlrev_b64 v[7:8], 2, v[7:8]
	v_add_co_u32_e32 v7, vcc, v0, v7
	v_addc_co_u32_e32 v8, vcc, v1, v8, vcc
	s_waitcnt lgkmcnt(0)
	global_store_dword v[7:8], v9, off
	v_add_u32_e32 v7, 0xd2, v5
	v_mov_b32_e32 v8, v6
	v_lshlrev_b64 v[7:8], 2, v[7:8]
	v_add_co_u32_e32 v7, vcc, v0, v7
	v_addc_co_u32_e32 v8, vcc, v1, v8, vcc
	global_store_dword v[7:8], v10, off
	v_add_u32_e32 v7, 0xfc, v5
	v_mov_b32_e32 v8, v6
	v_lshlrev_b64 v[6:7], 2, v[7:8]
	v_add_co_u32_e32 v6, vcc, v0, v6
	v_addc_co_u32_e32 v7, vcc, v1, v7, vcc
	v_cmp_eq_u32_e32 vcc, 41, v5
	global_store_dword v[6:7], v2, off
	s_and_b64 exec, exec, vcc
	s_cbranch_execz .LBB0_23
; %bb.22:
	ds_read_b32 v2, v3 offset:1012
	s_waitcnt lgkmcnt(0)
	global_store_dword v[0:1], v2, off offset:1176
.LBB0_23:
	s_endpgm
	.section	.rodata,"a",@progbits
	.p2align	6, 0x0
	.amdhsa_kernel fft_rtc_fwd_len294_factors_6_7_7_wgs_126_tpt_42_half_op_CI_CI_unitstride_sbrr_R2C_dirReg
		.amdhsa_group_segment_fixed_size 0
		.amdhsa_private_segment_fixed_size 0
		.amdhsa_kernarg_size 104
		.amdhsa_user_sgpr_count 6
		.amdhsa_user_sgpr_private_segment_buffer 1
		.amdhsa_user_sgpr_dispatch_ptr 0
		.amdhsa_user_sgpr_queue_ptr 0
		.amdhsa_user_sgpr_kernarg_segment_ptr 1
		.amdhsa_user_sgpr_dispatch_id 0
		.amdhsa_user_sgpr_flat_scratch_init 0
		.amdhsa_user_sgpr_private_segment_size 0
		.amdhsa_uses_dynamic_stack 0
		.amdhsa_system_sgpr_private_segment_wavefront_offset 0
		.amdhsa_system_sgpr_workgroup_id_x 1
		.amdhsa_system_sgpr_workgroup_id_y 0
		.amdhsa_system_sgpr_workgroup_id_z 0
		.amdhsa_system_sgpr_workgroup_info 0
		.amdhsa_system_vgpr_workitem_id 0
		.amdhsa_next_free_vgpr 46
		.amdhsa_next_free_sgpr 28
		.amdhsa_reserve_vcc 1
		.amdhsa_reserve_flat_scratch 0
		.amdhsa_float_round_mode_32 0
		.amdhsa_float_round_mode_16_64 0
		.amdhsa_float_denorm_mode_32 3
		.amdhsa_float_denorm_mode_16_64 3
		.amdhsa_dx10_clamp 1
		.amdhsa_ieee_mode 1
		.amdhsa_fp16_overflow 0
		.amdhsa_exception_fp_ieee_invalid_op 0
		.amdhsa_exception_fp_denorm_src 0
		.amdhsa_exception_fp_ieee_div_zero 0
		.amdhsa_exception_fp_ieee_overflow 0
		.amdhsa_exception_fp_ieee_underflow 0
		.amdhsa_exception_fp_ieee_inexact 0
		.amdhsa_exception_int_div_zero 0
	.end_amdhsa_kernel
	.text
.Lfunc_end0:
	.size	fft_rtc_fwd_len294_factors_6_7_7_wgs_126_tpt_42_half_op_CI_CI_unitstride_sbrr_R2C_dirReg, .Lfunc_end0-fft_rtc_fwd_len294_factors_6_7_7_wgs_126_tpt_42_half_op_CI_CI_unitstride_sbrr_R2C_dirReg
                                        ; -- End function
	.section	.AMDGPU.csdata,"",@progbits
; Kernel info:
; codeLenInByte = 5432
; NumSgprs: 32
; NumVgprs: 46
; ScratchSize: 0
; MemoryBound: 0
; FloatMode: 240
; IeeeMode: 1
; LDSByteSize: 0 bytes/workgroup (compile time only)
; SGPRBlocks: 3
; VGPRBlocks: 11
; NumSGPRsForWavesPerEU: 32
; NumVGPRsForWavesPerEU: 46
; Occupancy: 5
; WaveLimiterHint : 1
; COMPUTE_PGM_RSRC2:SCRATCH_EN: 0
; COMPUTE_PGM_RSRC2:USER_SGPR: 6
; COMPUTE_PGM_RSRC2:TRAP_HANDLER: 0
; COMPUTE_PGM_RSRC2:TGID_X_EN: 1
; COMPUTE_PGM_RSRC2:TGID_Y_EN: 0
; COMPUTE_PGM_RSRC2:TGID_Z_EN: 0
; COMPUTE_PGM_RSRC2:TIDIG_COMP_CNT: 0
	.type	__hip_cuid_b704d78dac39e9a,@object ; @__hip_cuid_b704d78dac39e9a
	.section	.bss,"aw",@nobits
	.globl	__hip_cuid_b704d78dac39e9a
__hip_cuid_b704d78dac39e9a:
	.byte	0                               ; 0x0
	.size	__hip_cuid_b704d78dac39e9a, 1

	.ident	"AMD clang version 19.0.0git (https://github.com/RadeonOpenCompute/llvm-project roc-6.4.0 25133 c7fe45cf4b819c5991fe208aaa96edf142730f1d)"
	.section	".note.GNU-stack","",@progbits
	.addrsig
	.addrsig_sym __hip_cuid_b704d78dac39e9a
	.amdgpu_metadata
---
amdhsa.kernels:
  - .args:
      - .actual_access:  read_only
        .address_space:  global
        .offset:         0
        .size:           8
        .value_kind:     global_buffer
      - .offset:         8
        .size:           8
        .value_kind:     by_value
      - .actual_access:  read_only
        .address_space:  global
        .offset:         16
        .size:           8
        .value_kind:     global_buffer
      - .actual_access:  read_only
        .address_space:  global
        .offset:         24
        .size:           8
        .value_kind:     global_buffer
      - .actual_access:  read_only
        .address_space:  global
        .offset:         32
        .size:           8
        .value_kind:     global_buffer
      - .offset:         40
        .size:           8
        .value_kind:     by_value
      - .actual_access:  read_only
        .address_space:  global
        .offset:         48
        .size:           8
        .value_kind:     global_buffer
      - .actual_access:  read_only
        .address_space:  global
        .offset:         56
        .size:           8
        .value_kind:     global_buffer
      - .offset:         64
        .size:           4
        .value_kind:     by_value
      - .actual_access:  read_only
        .address_space:  global
        .offset:         72
        .size:           8
        .value_kind:     global_buffer
      - .actual_access:  read_only
        .address_space:  global
        .offset:         80
        .size:           8
        .value_kind:     global_buffer
      - .actual_access:  read_only
        .address_space:  global
        .offset:         88
        .size:           8
        .value_kind:     global_buffer
      - .actual_access:  write_only
        .address_space:  global
        .offset:         96
        .size:           8
        .value_kind:     global_buffer
    .group_segment_fixed_size: 0
    .kernarg_segment_align: 8
    .kernarg_segment_size: 104
    .language:       OpenCL C
    .language_version:
      - 2
      - 0
    .max_flat_workgroup_size: 126
    .name:           fft_rtc_fwd_len294_factors_6_7_7_wgs_126_tpt_42_half_op_CI_CI_unitstride_sbrr_R2C_dirReg
    .private_segment_fixed_size: 0
    .sgpr_count:     32
    .sgpr_spill_count: 0
    .symbol:         fft_rtc_fwd_len294_factors_6_7_7_wgs_126_tpt_42_half_op_CI_CI_unitstride_sbrr_R2C_dirReg.kd
    .uniform_work_group_size: 1
    .uses_dynamic_stack: false
    .vgpr_count:     46
    .vgpr_spill_count: 0
    .wavefront_size: 64
amdhsa.target:   amdgcn-amd-amdhsa--gfx906
amdhsa.version:
  - 1
  - 2
...

	.end_amdgpu_metadata
